;; amdgpu-corpus repo=ROCm/rocFFT kind=compiled arch=gfx950 opt=O3
	.text
	.amdgcn_target "amdgcn-amd-amdhsa--gfx950"
	.amdhsa_code_object_version 6
	.protected	fft_rtc_back_len125_factors_5_5_5_wgs_400_tpt_25_dp_op_CI_CI_sbcc_dirReg_intrinsicRead ; -- Begin function fft_rtc_back_len125_factors_5_5_5_wgs_400_tpt_25_dp_op_CI_CI_sbcc_dirReg_intrinsicRead
	.globl	fft_rtc_back_len125_factors_5_5_5_wgs_400_tpt_25_dp_op_CI_CI_sbcc_dirReg_intrinsicRead
	.p2align	8
	.type	fft_rtc_back_len125_factors_5_5_5_wgs_400_tpt_25_dp_op_CI_CI_sbcc_dirReg_intrinsicRead,@function
fft_rtc_back_len125_factors_5_5_5_wgs_400_tpt_25_dp_op_CI_CI_sbcc_dirReg_intrinsicRead: ; @fft_rtc_back_len125_factors_5_5_5_wgs_400_tpt_25_dp_op_CI_CI_sbcc_dirReg_intrinsicRead
; %bb.0:
	s_load_dwordx4 s[16:19], s[0:1], 0x18
	s_load_dwordx2 s[26:27], s[0:1], 0x28
	s_mov_b32 s3, 0
	s_mov_b64 s[22:23], 0
	s_waitcnt lgkmcnt(0)
	s_load_dwordx2 s[24:25], s[16:17], 0x8
	s_waitcnt lgkmcnt(0)
	s_add_u32 s4, s24, -1
	s_addc_u32 s5, s25, -1
	s_lshr_b64 s[4:5], s[4:5], 4
	s_add_u32 s28, s4, 1
	s_addc_u32 s29, s5, 0
	v_mov_b64_e32 v[2:3], s[28:29]
	v_cmp_lt_u64_e32 vcc, s[2:3], v[2:3]
	s_cbranch_vccnz .LBB0_2
; %bb.1:
	v_cvt_f32_u32_e32 v1, s28
	s_sub_i32 s4, 0, s28
	s_mov_b32 s23, s3
	v_rcp_iflag_f32_e32 v1, v1
	s_nop 0
	v_mul_f32_e32 v1, 0x4f7ffffe, v1
	v_cvt_u32_f32_e32 v1, v1
	s_nop 0
	v_readfirstlane_b32 s5, v1
	s_mul_i32 s4, s4, s5
	s_mul_hi_u32 s4, s5, s4
	s_add_i32 s5, s5, s4
	s_mul_hi_u32 s4, s2, s5
	s_mul_i32 s6, s4, s28
	s_sub_i32 s6, s2, s6
	s_add_i32 s5, s4, 1
	s_sub_i32 s7, s6, s28
	s_cmp_ge_u32 s6, s28
	s_cselect_b32 s4, s5, s4
	s_cselect_b32 s6, s7, s6
	s_add_i32 s5, s4, 1
	s_cmp_ge_u32 s6, s28
	s_cselect_b32 s22, s5, s4
.LBB0_2:
	s_load_dwordx4 s[8:11], s[0:1], 0x60
	s_load_dwordx4 s[12:15], s[18:19], 0x0
	;; [unrolled: 1-line block ×3, first 2 shown]
	s_load_dwordx2 s[20:21], s[0:1], 0x0
	s_load_dwordx2 s[34:35], s[0:1], 0x10
	s_mul_i32 s0, s22, s29
	s_mul_hi_u32 s1, s22, s28
	s_add_i32 s1, s1, s0
	s_mul_i32 s0, s22, s28
	s_sub_u32 s0, s2, s0
	s_subb_u32 s1, 0, s1
	v_mov_b32_e32 v1, s0
	s_lshl_b64 s[30:31], s[0:1], 4
	v_alignbit_b32 v1, s1, v1, 28
	s_waitcnt lgkmcnt(0)
	v_mul_lo_u32 v2, s14, v1
	s_mul_hi_u32 s0, s14, s30
	v_add_u32_e32 v2, s0, v2
	s_mul_i32 s0, s15, s30
	v_add_u32_e32 v3, s0, v2
	s_mul_i32 s0, s14, s30
	v_mov_b32_e32 v2, s0
	v_mul_lo_u32 v1, s6, v1
	s_mul_hi_u32 s0, s6, s30
	v_add_u32_e32 v1, s0, v1
	s_mul_i32 s0, s7, s30
	v_add_u32_e32 v23, s0, v1
	s_mul_i32 s0, s6, s30
	v_mov_b32_e32 v22, s0
	v_cmp_lt_u64_e64 s[0:1], s[34:35], 3
	s_and_b64 vcc, exec, s[0:1]
	s_cbranch_vccnz .LBB0_11
; %bb.3:
	s_add_u32 s36, s26, 16
	s_addc_u32 s37, s27, 0
	s_add_u32 s38, s18, 16
	s_addc_u32 s39, s19, 0
	s_add_u32 s16, s16, 16
	s_addc_u32 s17, s17, 0
	s_mov_b64 s[40:41], 2
	s_mov_b32 s42, 0
	v_mov_b64_e32 v[4:5], s[34:35]
	s_branch .LBB0_5
.LBB0_4:                                ;   in Loop: Header=BB0_5 Depth=1
	s_mul_i32 s13, s44, s29
	s_mul_hi_u32 s15, s44, s28
	s_add_i32 s13, s15, s13
	s_mul_i32 s15, s45, s28
	s_add_i32 s29, s13, s15
	s_mul_i32 s13, s0, s45
	s_mul_hi_u32 s15, s0, s44
	s_load_dwordx2 s[46:47], s[38:39], 0x0
	s_add_i32 s13, s15, s13
	s_mul_i32 s15, s1, s44
	s_add_i32 s13, s13, s15
	s_mul_i32 s15, s0, s44
	s_sub_u32 s15, s22, s15
	s_subb_u32 s13, s23, s13
	s_waitcnt lgkmcnt(0)
	s_mul_i32 s22, s46, s13
	s_mul_hi_u32 s23, s46, s15
	s_add_i32 s33, s23, s22
	s_load_dwordx2 s[22:23], s[36:37], 0x0
	s_mul_i32 s43, s47, s15
	s_add_i32 s45, s33, s43
	s_mul_i32 s28, s44, s28
	s_mul_i32 s44, s46, s15
	s_waitcnt lgkmcnt(0)
	s_mul_i32 s13, s22, s13
	s_mul_hi_u32 s33, s22, s15
	s_add_i32 s13, s33, s13
	s_mul_i32 s23, s23, s15
	s_add_i32 s23, s13, s23
	s_add_u32 s40, s40, 1
	s_addc_u32 s41, s41, 0
	s_add_u32 s36, s36, 8
	s_addc_u32 s37, s37, 0
	;; [unrolled: 2-line block ×3, first 2 shown]
	s_mul_i32 s22, s22, s15
	s_add_u32 s16, s16, 8
	v_cmp_ge_u64_e32 vcc, s[40:41], v[4:5]
	v_lshl_add_u64 v[2:3], s[44:45], 0, v[2:3]
	v_lshl_add_u64 v[22:23], s[22:23], 0, v[22:23]
	s_addc_u32 s17, s17, 0
	s_mov_b64 s[22:23], s[0:1]
	s_cbranch_vccnz .LBB0_9
.LBB0_5:                                ; =>This Inner Loop Header: Depth=1
	s_load_dwordx2 s[44:45], s[16:17], 0x0
	s_waitcnt lgkmcnt(0)
	s_or_b64 s[0:1], s[22:23], s[44:45]
	s_mov_b32 s43, s1
	s_cmp_lg_u64 s[42:43], 0
	s_cbranch_scc0 .LBB0_7
; %bb.6:                                ;   in Loop: Header=BB0_5 Depth=1
	v_cvt_f32_u32_e32 v1, s44
	v_cvt_f32_u32_e32 v6, s45
	s_sub_u32 s0, 0, s44
	s_subb_u32 s1, 0, s45
	v_fmac_f32_e32 v1, 0x4f800000, v6
	v_rcp_f32_e32 v1, v1
	s_nop 0
	v_mul_f32_e32 v1, 0x5f7ffffc, v1
	v_mul_f32_e32 v6, 0x2f800000, v1
	v_trunc_f32_e32 v6, v6
	v_fmac_f32_e32 v1, 0xcf800000, v6
	v_cvt_u32_f32_e32 v6, v6
	v_cvt_u32_f32_e32 v1, v1
	v_readfirstlane_b32 s13, v6
	v_readfirstlane_b32 s15, v1
	s_mul_i32 s33, s0, s13
	s_mul_hi_u32 s46, s0, s15
	s_mul_i32 s43, s1, s15
	s_add_i32 s33, s46, s33
	s_mul_i32 s47, s0, s15
	s_add_i32 s33, s33, s43
	s_mul_hi_u32 s43, s15, s33
	s_mul_i32 s46, s15, s33
	s_mul_hi_u32 s15, s15, s47
	s_add_u32 s15, s15, s46
	s_addc_u32 s43, 0, s43
	s_mul_hi_u32 s48, s13, s47
	s_mul_i32 s47, s13, s47
	s_add_u32 s15, s15, s47
	s_mul_hi_u32 s46, s13, s33
	s_addc_u32 s15, s43, s48
	s_addc_u32 s43, s46, 0
	s_mul_i32 s33, s13, s33
	s_add_u32 s15, s15, s33
	s_addc_u32 s33, 0, s43
	v_add_co_u32_e32 v1, vcc, s15, v1
	s_cmp_lg_u64 vcc, 0
	s_addc_u32 s13, s13, s33
	v_readfirstlane_b32 s33, v1
	s_mul_i32 s15, s0, s13
	s_mul_hi_u32 s43, s0, s33
	s_add_i32 s15, s43, s15
	s_mul_i32 s1, s1, s33
	s_add_i32 s15, s15, s1
	s_mul_i32 s0, s0, s33
	s_mul_hi_u32 s43, s13, s0
	s_mul_i32 s46, s13, s0
	s_mul_i32 s48, s33, s15
	s_mul_hi_u32 s0, s33, s0
	s_mul_hi_u32 s47, s33, s15
	s_add_u32 s0, s0, s48
	s_addc_u32 s33, 0, s47
	s_add_u32 s0, s0, s46
	s_mul_hi_u32 s1, s13, s15
	s_addc_u32 s0, s33, s43
	s_addc_u32 s1, s1, 0
	s_mul_i32 s15, s13, s15
	s_add_u32 s0, s0, s15
	s_addc_u32 s1, 0, s1
	v_add_co_u32_e32 v1, vcc, s0, v1
	s_cmp_lg_u64 vcc, 0
	s_addc_u32 s0, s13, s1
	v_readfirstlane_b32 s15, v1
	s_mul_i32 s13, s22, s0
	s_mul_hi_u32 s33, s22, s15
	s_mul_hi_u32 s1, s22, s0
	s_add_u32 s13, s33, s13
	s_addc_u32 s1, 0, s1
	s_mul_hi_u32 s43, s23, s15
	s_mul_i32 s15, s23, s15
	s_add_u32 s13, s13, s15
	s_mul_hi_u32 s33, s23, s0
	s_addc_u32 s1, s1, s43
	s_addc_u32 s13, s33, 0
	s_mul_i32 s0, s23, s0
	s_add_u32 s15, s1, s0
	s_addc_u32 s13, 0, s13
	s_mul_i32 s0, s44, s13
	s_mul_hi_u32 s1, s44, s15
	s_add_i32 s0, s1, s0
	s_mul_i32 s1, s45, s15
	s_add_i32 s33, s0, s1
	s_mul_i32 s1, s44, s15
	v_mov_b32_e32 v1, s1
	s_sub_i32 s0, s23, s33
	v_sub_co_u32_e32 v1, vcc, s22, v1
	s_cmp_lg_u64 vcc, 0
	s_subb_u32 s43, s0, s45
	v_subrev_co_u32_e64 v6, s[0:1], s44, v1
	s_cmp_lg_u64 s[0:1], 0
	s_subb_u32 s0, s43, 0
	s_cmp_ge_u32 s0, s45
	v_readfirstlane_b32 s43, v6
	s_cselect_b32 s1, -1, 0
	s_cmp_ge_u32 s43, s44
	s_cselect_b32 s43, -1, 0
	s_cmp_eq_u32 s0, s45
	s_cselect_b32 s0, s43, s1
	s_add_u32 s1, s15, 1
	s_addc_u32 s43, s13, 0
	s_add_u32 s46, s15, 2
	s_addc_u32 s47, s13, 0
	s_cmp_lg_u32 s0, 0
	s_cselect_b32 s0, s46, s1
	s_cselect_b32 s1, s47, s43
	s_cmp_lg_u64 vcc, 0
	s_subb_u32 s33, s23, s33
	s_cmp_ge_u32 s33, s45
	v_readfirstlane_b32 s46, v1
	s_cselect_b32 s43, -1, 0
	s_cmp_ge_u32 s46, s44
	s_cselect_b32 s46, -1, 0
	s_cmp_eq_u32 s33, s45
	s_cselect_b32 s33, s46, s43
	s_cmp_lg_u32 s33, 0
	s_cselect_b32 s1, s1, s13
	s_cselect_b32 s0, s0, s15
	s_cbranch_execnz .LBB0_4
	s_branch .LBB0_8
.LBB0_7:                                ;   in Loop: Header=BB0_5 Depth=1
                                        ; implicit-def: $sgpr0_sgpr1
.LBB0_8:                                ;   in Loop: Header=BB0_5 Depth=1
	v_cvt_f32_u32_e32 v1, s44
	s_sub_i32 s0, 0, s44
	v_rcp_iflag_f32_e32 v1, v1
	s_nop 0
	v_mul_f32_e32 v1, 0x4f7ffffe, v1
	v_cvt_u32_f32_e32 v1, v1
	s_nop 0
	v_readfirstlane_b32 s1, v1
	s_mul_i32 s0, s0, s1
	s_mul_hi_u32 s0, s1, s0
	s_add_i32 s1, s1, s0
	s_mul_hi_u32 s0, s22, s1
	s_mul_i32 s13, s0, s44
	s_sub_i32 s13, s22, s13
	s_add_i32 s1, s0, 1
	s_sub_i32 s15, s13, s44
	s_cmp_ge_u32 s13, s44
	s_cselect_b32 s0, s1, s0
	s_cselect_b32 s13, s15, s13
	s_add_i32 s1, s0, 1
	s_cmp_ge_u32 s13, s44
	s_cselect_b32 s0, s1, s0
	s_mov_b32 s1, s42
	s_branch .LBB0_4
.LBB0_9:
	v_mov_b64_e32 v[4:5], s[28:29]
	v_cmp_lt_u64_e32 vcc, s[2:3], v[4:5]
	s_mov_b64 s[22:23], 0
	s_cbranch_vccnz .LBB0_11
; %bb.10:
	v_cvt_f32_u32_e32 v1, s28
	s_sub_i32 s0, 0, s28
	v_rcp_iflag_f32_e32 v1, v1
	s_nop 0
	v_mul_f32_e32 v1, 0x4f7ffffe, v1
	v_cvt_u32_f32_e32 v1, v1
	s_nop 0
	v_readfirstlane_b32 s1, v1
	s_mul_i32 s0, s0, s1
	s_mul_hi_u32 s0, s1, s0
	s_add_i32 s1, s1, s0
	s_mul_hi_u32 s0, s2, s1
	s_mul_i32 s3, s0, s28
	s_sub_i32 s2, s2, s3
	s_add_i32 s1, s0, 1
	s_sub_i32 s3, s2, s28
	s_cmp_ge_u32 s2, s28
	s_cselect_b32 s0, s1, s0
	s_cselect_b32 s2, s3, s2
	s_add_i32 s1, s0, 1
	s_cmp_ge_u32 s2, s28
	s_cselect_b32 s22, s1, s0
.LBB0_11:
	s_lshl_b64 s[0:1], s[34:35], 3
	s_add_u32 s2, s18, s0
	s_addc_u32 s3, s19, s1
	s_load_dwordx2 s[2:3], s[2:3], 0x0
	v_and_b32_e32 v1, 15, v0
	v_mov_b64_e32 v[8:9], 0
	v_mov_b32_e32 v7, 0
	v_mov_b64_e32 v[4:5], v[8:9]
	s_waitcnt lgkmcnt(0)
	s_mul_i32 s3, s3, s22
	s_mul_hi_u32 s13, s2, s22
	s_mul_i32 s2, s2, s22
	s_add_i32 s3, s13, s3
	v_lshl_add_u64 v[24:25], s[2:3], 0, v[2:3]
	s_add_u32 s2, s26, s0
	s_addc_u32 s3, s27, s1
	s_add_u32 s0, s30, 16
	s_addc_u32 s1, s31, 0
	v_mov_b64_e32 v[2:3], s[24:25]
	v_cmp_le_u64_e32 vcc, s[0:1], v[2:3]
	v_mad_u64_u32 v[26:27], s[0:1], s14, v1, 0
	v_or_b32_e32 v2, s30, v1
	v_mov_b32_e32 v3, s31
	v_cmp_gt_u64_e64 s[0:1], s[24:25], v[2:3]
	v_lshrrev_b32_e32 v25, 4, v0
	s_or_b64 s[16:17], vcc, s[0:1]
	v_mov_b64_e32 v[2:3], v[8:9]
	s_and_saveexec_b64 s[0:1], s[16:17]
	s_cbranch_execz .LBB0_13
; %bb.12:
	v_mul_lo_u32 v2, s12, v25
	v_add3_u32 v6, v24, v26, v2
	v_lshl_add_u64 v[2:3], v[6:7], 4, s[8:9]
	global_load_dwordx4 v[2:5], v[2:3], off
.LBB0_13:
	s_or_b64 exec, exec, s[0:1]
	v_mov_b64_e32 v[6:7], v[8:9]
	s_and_saveexec_b64 s[0:1], s[16:17]
	s_cbranch_execz .LBB0_15
; %bb.14:
	v_add_u32_e32 v6, 25, v25
	v_mul_lo_u32 v6, s12, v6
	v_add3_u32 v6, v24, v26, v6
	v_mov_b32_e32 v7, 0
	v_lshl_add_u64 v[6:7], v[6:7], 4, s[8:9]
	global_load_dwordx4 v[6:9], v[6:7], off
.LBB0_15:
	s_or_b64 exec, exec, s[0:1]
	v_mov_b64_e32 v[12:13], 0
	v_mov_b64_e32 v[16:17], v[12:13]
	v_mov_b64_e32 v[14:15], v[12:13]
	s_and_saveexec_b64 s[0:1], s[16:17]
	s_cbranch_execz .LBB0_17
; %bb.16:
	v_add_u32_e32 v10, 50, v25
	v_mul_lo_u32 v10, s12, v10
	v_add3_u32 v10, v24, v26, v10
	v_mov_b32_e32 v11, 0
	v_lshl_add_u64 v[10:11], v[10:11], 4, s[8:9]
	global_load_dwordx4 v[14:17], v[10:11], off
.LBB0_17:
	s_or_b64 exec, exec, s[0:1]
	v_mov_b64_e32 v[10:11], v[12:13]
	s_and_saveexec_b64 s[0:1], s[16:17]
	s_cbranch_execz .LBB0_19
; %bb.18:
	v_add_u32_e32 v10, 0x4b, v25
	v_mul_lo_u32 v10, s12, v10
	v_add3_u32 v10, v24, v26, v10
	v_mov_b32_e32 v11, 0
	v_lshl_add_u64 v[10:11], v[10:11], 4, s[8:9]
	global_load_dwordx4 v[10:13], v[10:11], off
.LBB0_19:
	s_or_b64 exec, exec, s[0:1]
	v_mov_b64_e32 v[20:21], 0
	v_mov_b64_e32 v[18:19], v[20:21]
	s_and_saveexec_b64 s[0:1], s[16:17]
	s_cbranch_execz .LBB0_21
; %bb.20:
	v_add_u32_e32 v18, 0x64, v25
	v_mul_lo_u32 v18, s12, v18
	v_add3_u32 v18, v24, v26, v18
	v_mov_b32_e32 v19, 0
	v_lshl_add_u64 v[18:19], v[18:19], 4, s[8:9]
	global_load_dwordx4 v[18:21], v[18:19], off
.LBB0_21:
	s_or_b64 exec, exec, s[0:1]
	s_waitcnt vmcnt(0)
	v_add_f64 v[28:29], v[14:15], v[10:11]
	s_mov_b32 s8, 0x134454ff
	v_fma_f64 v[30:31], -0.5, v[28:29], v[2:3]
	v_add_f64 v[28:29], v[8:9], -v[20:21]
	s_mov_b32 s9, 0xbfee6f0e
	s_mov_b32 s0, 0x4755a5e
	;; [unrolled: 1-line block ×4, first 2 shown]
	s_load_dwordx2 s[18:19], s[2:3], 0x0
	v_fma_f64 v[34:35], s[8:9], v[28:29], v[30:31]
	v_add_f64 v[32:33], v[16:17], -v[12:13]
	s_mov_b32 s1, 0xbfe2cf23
	v_add_f64 v[36:37], v[6:7], -v[14:15]
	v_add_f64 v[38:39], v[18:19], -v[10:11]
	s_mov_b32 s2, 0x372fe950
	v_fmac_f64_e32 v[30:31], s[14:15], v[28:29]
	s_mov_b32 s13, 0x3fe2cf23
	s_mov_b32 s12, s0
	v_fmac_f64_e32 v[34:35], s[0:1], v[32:33]
	v_add_f64 v[36:37], v[36:37], v[38:39]
	s_mov_b32 s3, 0x3fd3c6ef
	v_fmac_f64_e32 v[30:31], s[12:13], v[32:33]
	v_fmac_f64_e32 v[34:35], s[2:3], v[36:37]
	v_fmac_f64_e32 v[30:31], s[2:3], v[36:37]
	v_add_f64 v[36:37], v[6:7], v[18:19]
	v_add_f64 v[26:27], v[2:3], v[6:7]
	v_fmac_f64_e32 v[2:3], -0.5, v[36:37]
	v_add_f64 v[26:27], v[26:27], v[14:15]
	v_fma_f64 v[38:39], s[14:15], v[32:33], v[2:3]
	v_add_f64 v[36:37], v[14:15], -v[6:7]
	v_add_f64 v[40:41], v[10:11], -v[18:19]
	v_fmac_f64_e32 v[2:3], s[8:9], v[32:33]
	v_add_f64 v[32:33], v[16:17], v[12:13]
	v_add_f64 v[26:27], v[26:27], v[10:11]
	v_fmac_f64_e32 v[38:39], s[0:1], v[28:29]
	v_add_f64 v[36:37], v[36:37], v[40:41]
	v_fmac_f64_e32 v[2:3], s[12:13], v[28:29]
	v_fma_f64 v[32:33], -0.5, v[32:33], v[4:5]
	v_add_f64 v[6:7], v[6:7], -v[18:19]
	v_add_f64 v[26:27], v[26:27], v[18:19]
	v_fmac_f64_e32 v[38:39], s[2:3], v[36:37]
	v_fmac_f64_e32 v[2:3], s[2:3], v[36:37]
	v_fma_f64 v[36:37], s[14:15], v[6:7], v[32:33]
	v_add_f64 v[10:11], v[14:15], -v[10:11]
	v_add_f64 v[14:15], v[8:9], -v[16:17]
	;; [unrolled: 1-line block ×3, first 2 shown]
	v_fmac_f64_e32 v[32:33], s[8:9], v[6:7]
	v_fmac_f64_e32 v[36:37], s[12:13], v[10:11]
	v_add_f64 v[14:15], v[14:15], v[18:19]
	v_fmac_f64_e32 v[32:33], s[0:1], v[10:11]
	v_fmac_f64_e32 v[36:37], s[2:3], v[14:15]
	;; [unrolled: 1-line block ×3, first 2 shown]
	v_add_f64 v[14:15], v[8:9], v[20:21]
	v_add_f64 v[28:29], v[4:5], v[8:9]
	v_fmac_f64_e32 v[4:5], -0.5, v[14:15]
	v_add_f64 v[28:29], v[28:29], v[16:17]
	v_fma_f64 v[40:41], s[8:9], v[10:11], v[4:5]
	v_fmac_f64_e32 v[4:5], s[14:15], v[10:11]
	v_add_f64 v[28:29], v[28:29], v[12:13]
	v_fmac_f64_e32 v[40:41], s[12:13], v[6:7]
	v_add_f64 v[8:9], v[16:17], -v[8:9]
	v_add_f64 v[12:13], v[12:13], -v[20:21]
	v_fmac_f64_e32 v[4:5], s[0:1], v[6:7]
	v_mul_u32_u24_e32 v6, 0x500, v25
	v_lshlrev_b32_e32 v24, 4, v1
	v_add_f64 v[28:29], v[28:29], v[20:21]
	v_add_f64 v[8:9], v[8:9], v[12:13]
	v_add3_u32 v20, 0, v6, v24
	s_movk_i32 s23, 0xcd
	v_fmac_f64_e32 v[40:41], s[2:3], v[8:9]
	v_fmac_f64_e32 v[4:5], s[2:3], v[8:9]
	ds_write_b128 v20, v[26:29]
	ds_write_b128 v20, v[34:37] offset:256
	ds_write_b128 v20, v[38:41] offset:512
	;; [unrolled: 1-line block ×4, first 2 shown]
	v_mul_lo_u16_sdwa v2, v25, s23 dst_sel:DWORD dst_unused:UNUSED_PAD src0_sel:BYTE_0 src1_sel:DWORD
	v_lshrrev_b16_e32 v3, 10, v2
	v_mul_lo_u16_e32 v2, 5, v3
	v_sub_u16_e32 v2, v25, v2
	v_and_b32_e32 v46, 0xff, v2
	v_lshlrev_b32_e32 v2, 6, v46
	s_waitcnt lgkmcnt(0)
	s_barrier
	global_load_dwordx4 v[4:7], v2, s[20:21]
	global_load_dwordx4 v[8:11], v2, s[20:21] offset:16
	global_load_dwordx4 v[12:15], v2, s[20:21] offset:32
	;; [unrolled: 1-line block ×3, first 2 shown]
	v_lshlrev_b32_e32 v2, 10, v25
	v_sub_u32_e32 v2, v20, v2
	ds_read_b128 v[26:29], v2 offset:6400
	ds_read_b128 v[30:33], v2
	ds_read_b128 v[34:37], v2 offset:12800
	ds_read_b128 v[38:41], v2 offset:19200
	;; [unrolled: 1-line block ×3, first 2 shown]
	v_mul_u32_u24_e32 v3, 25, v3
	v_add_lshl_u32 v3, v3, v46, 8
	v_add3_u32 v3, 0, v3, v24
	s_waitcnt lgkmcnt(0)
	s_barrier
	s_waitcnt vmcnt(3)
	v_mul_f64 v[20:21], v[28:29], v[6:7]
	v_mul_f64 v[6:7], v[26:27], v[6:7]
	v_fmac_f64_e32 v[20:21], v[26:27], v[4:5]
	v_fma_f64 v[26:27], v[28:29], v[4:5], -v[6:7]
	s_waitcnt vmcnt(2)
	v_mul_f64 v[28:29], v[36:37], v[10:11]
	v_mul_f64 v[4:5], v[34:35], v[10:11]
	v_fmac_f64_e32 v[28:29], v[34:35], v[8:9]
	v_fma_f64 v[34:35], v[36:37], v[8:9], -v[4:5]
	;; [unrolled: 5-line block ×3, first 2 shown]
	s_waitcnt vmcnt(0)
	v_mul_f64 v[4:5], v[42:43], v[18:19]
	v_mul_f64 v[14:15], v[44:45], v[18:19]
	v_fma_f64 v[40:41], v[44:45], v[16:17], -v[4:5]
	v_add_f64 v[6:7], v[28:29], v[36:37]
	v_fmac_f64_e32 v[14:15], v[42:43], v[16:17]
	v_fma_f64 v[8:9], -0.5, v[6:7], v[30:31]
	v_add_f64 v[6:7], v[26:27], -v[40:41]
	v_fma_f64 v[12:13], s[8:9], v[6:7], v[8:9]
	v_add_f64 v[10:11], v[34:35], -v[38:39]
	v_add_f64 v[16:17], v[20:21], -v[28:29]
	;; [unrolled: 1-line block ×3, first 2 shown]
	v_fmac_f64_e32 v[8:9], s[14:15], v[6:7]
	v_fmac_f64_e32 v[12:13], s[0:1], v[10:11]
	v_add_f64 v[16:17], v[16:17], v[18:19]
	v_fmac_f64_e32 v[8:9], s[12:13], v[10:11]
	v_fmac_f64_e32 v[12:13], s[2:3], v[16:17]
	;; [unrolled: 1-line block ×3, first 2 shown]
	v_add_f64 v[16:17], v[20:21], v[14:15]
	v_add_f64 v[4:5], v[30:31], v[20:21]
	v_fmac_f64_e32 v[30:31], -0.5, v[16:17]
	v_add_f64 v[4:5], v[4:5], v[28:29]
	v_fma_f64 v[16:17], s[14:15], v[10:11], v[30:31]
	v_add_f64 v[18:19], v[28:29], -v[20:21]
	v_add_f64 v[42:43], v[36:37], -v[14:15]
	v_fmac_f64_e32 v[30:31], s[8:9], v[10:11]
	v_add_f64 v[10:11], v[34:35], v[38:39]
	v_add_f64 v[4:5], v[4:5], v[36:37]
	v_fmac_f64_e32 v[16:17], s[0:1], v[6:7]
	v_add_f64 v[18:19], v[18:19], v[42:43]
	v_fmac_f64_e32 v[30:31], s[12:13], v[6:7]
	v_fma_f64 v[10:11], -0.5, v[10:11], v[32:33]
	v_add_f64 v[20:21], v[20:21], -v[14:15]
	v_add_f64 v[4:5], v[4:5], v[14:15]
	v_fmac_f64_e32 v[16:17], s[2:3], v[18:19]
	v_fmac_f64_e32 v[30:31], s[2:3], v[18:19]
	v_fma_f64 v[14:15], s[14:15], v[20:21], v[10:11]
	v_add_f64 v[28:29], v[28:29], -v[36:37]
	v_add_f64 v[18:19], v[26:27], -v[34:35]
	;; [unrolled: 1-line block ×3, first 2 shown]
	v_fmac_f64_e32 v[10:11], s[8:9], v[20:21]
	v_fmac_f64_e32 v[14:15], s[12:13], v[28:29]
	v_add_f64 v[18:19], v[18:19], v[36:37]
	v_fmac_f64_e32 v[10:11], s[0:1], v[28:29]
	v_add_f64 v[6:7], v[32:33], v[26:27]
	v_fmac_f64_e32 v[14:15], s[2:3], v[18:19]
	v_fmac_f64_e32 v[10:11], s[2:3], v[18:19]
	v_add_f64 v[18:19], v[26:27], v[40:41]
	v_add_f64 v[6:7], v[6:7], v[34:35]
	v_fmac_f64_e32 v[32:33], -0.5, v[18:19]
	v_add_f64 v[6:7], v[6:7], v[38:39]
	v_fma_f64 v[18:19], s[8:9], v[28:29], v[32:33]
	v_add_f64 v[26:27], v[34:35], -v[26:27]
	v_add_f64 v[34:35], v[38:39], -v[40:41]
	v_fmac_f64_e32 v[32:33], s[14:15], v[28:29]
	v_add_f64 v[6:7], v[6:7], v[40:41]
	v_fmac_f64_e32 v[18:19], s[12:13], v[20:21]
	v_add_f64 v[26:27], v[26:27], v[34:35]
	v_fmac_f64_e32 v[32:33], s[0:1], v[20:21]
	v_fmac_f64_e32 v[18:19], s[2:3], v[26:27]
	;; [unrolled: 1-line block ×3, first 2 shown]
	ds_write_b128 v3, v[4:7]
	ds_write_b128 v3, v[12:15] offset:1280
	ds_write_b128 v3, v[16:19] offset:2560
	ds_write_b128 v3, v[30:33] offset:3840
	ds_write_b128 v3, v[8:11] offset:5120
	s_waitcnt lgkmcnt(0)
	s_barrier
	s_and_saveexec_b64 s[24:25], s[16:17]
	s_cbranch_execz .LBB0_23
; %bb.22:
	v_mov_b32_e32 v3, 41
	v_mul_lo_u16_sdwa v3, v25, v3 dst_sel:DWORD dst_unused:UNUSED_PAD src0_sel:BYTE_0 src1_sel:DWORD
	v_lshrrev_b16_e32 v3, 10, v3
	v_mul_lo_u16_e32 v3, 25, v3
	v_sub_u16_e32 v60, v25, v3
	v_mov_b32_e32 v3, 6
	v_lshlrev_b32_sdwa v3, v3, v60 dst_sel:DWORD dst_unused:UNUSED_PAD src0_sel:DWORD src1_sel:BYTE_0
	global_load_dwordx4 v[4:7], v3, s[20:21] offset:336
	global_load_dwordx4 v[8:11], v3, s[20:21] offset:320
	;; [unrolled: 1-line block ×4, first 2 shown]
	ds_read_b128 v[24:27], v2 offset:12800
	ds_read_b128 v[28:31], v2 offset:19200
	;; [unrolled: 1-line block ×4, first 2 shown]
	ds_read_b128 v[40:43], v2
	v_lshrrev_b16_e32 v0, 4, v0
	v_mul_u32_u24_e32 v0, 0xa3e, v0
	s_mul_i32 s17, s19, s22
	s_mul_hi_u32 s19, s18, s22
	s_mul_i32 s16, s18, s22
	s_add_i32 s17, s19, s17
	v_lshlrev_b64 v[22:23], 4, v[22:23]
	s_waitcnt vmcnt(3) lgkmcnt(4)
	v_mul_f64 v[2:3], v[24:25], v[6:7]
	s_waitcnt vmcnt(2) lgkmcnt(2)
	v_mul_f64 v[20:21], v[32:33], v[10:11]
	s_waitcnt vmcnt(1)
	v_mul_f64 v[44:45], v[28:29], v[14:15]
	s_waitcnt vmcnt(0) lgkmcnt(1)
	v_mul_f64 v[46:47], v[36:37], v[18:19]
	v_mul_f64 v[48:49], v[26:27], v[6:7]
	;; [unrolled: 1-line block ×5, first 2 shown]
	v_fma_f64 v[2:3], v[26:27], v[4:5], -v[2:3]
	v_fma_f64 v[10:11], v[34:35], v[8:9], -v[20:21]
	;; [unrolled: 1-line block ×4, first 2 shown]
	v_fmac_f64_e32 v[48:49], v[24:25], v[4:5]
	v_fmac_f64_e32 v[50:51], v[28:29], v[12:13]
	;; [unrolled: 1-line block ×4, first 2 shown]
	v_add_f64 v[4:5], v[2:3], -v[10:11]
	v_add_f64 v[8:9], v[14:15], -v[20:21]
	v_add_f64 v[12:13], v[10:11], v[20:21]
	v_add_f64 v[16:17], v[10:11], -v[2:3]
	v_add_f64 v[30:31], v[2:3], v[14:15]
	s_waitcnt lgkmcnt(0)
	v_add_f64 v[32:33], v[42:43], v[10:11]
	v_add_f64 v[38:39], v[10:11], -v[20:21]
	v_add_f64 v[10:11], v[6:7], v[18:19]
	v_add_f64 v[54:55], v[48:49], v[50:51]
	v_add_f64 v[24:25], v[48:49], -v[50:51]
	v_add_f64 v[26:27], v[6:7], -v[18:19]
	;; [unrolled: 1-line block ×6, first 2 shown]
	v_add_f64 v[56:57], v[40:41], v[6:7]
	v_add_f64 v[58:59], v[4:5], v[8:9]
	v_fma_f64 v[4:5], -0.5, v[12:13], v[42:43]
	v_fma_f64 v[8:9], -0.5, v[30:31], v[42:43]
	v_add_f64 v[30:31], v[32:33], v[2:3]
	v_fma_f64 v[2:3], -0.5, v[10:11], v[40:41]
	v_fma_f64 v[6:7], -0.5, v[54:55], v[40:41]
	v_add_f64 v[28:29], v[16:17], v[28:29]
	v_fma_f64 v[12:13], s[14:15], v[24:25], v[4:5]
	v_fma_f64 v[16:17], s[8:9], v[26:27], v[8:9]
	v_fmac_f64_e32 v[8:9], s[14:15], v[26:27]
	v_add_f64 v[30:31], v[30:31], v[14:15]
	v_fma_f64 v[10:11], s[8:9], v[44:45], v[2:3]
	v_fmac_f64_e32 v[2:3], s[14:15], v[44:45]
	v_fma_f64 v[14:15], s[14:15], v[38:39], v[6:7]
	v_fmac_f64_e32 v[6:7], s[8:9], v[38:39]
	v_fmac_f64_e32 v[4:5], s[8:9], v[24:25]
	v_fmac_f64_e32 v[12:13], s[0:1], v[26:27]
	v_fmac_f64_e32 v[16:17], s[0:1], v[24:25]
	v_fmac_f64_e32 v[8:9], s[12:13], v[24:25]
	v_fmac_f64_e32 v[2:3], s[0:1], v[38:39]
	v_fmac_f64_e32 v[6:7], s[0:1], v[44:45]
	v_mad_u64_u32 v[24:25], s[0:1], s6, v1, 0
	v_fmac_f64_e32 v[4:5], s[12:13], v[26:27]
	v_mov_b32_e32 v26, v25
	v_mad_u64_u32 v[26:27], s[0:1], s7, v1, v[26:27]
	s_movk_i32 s0, 0x7d
	s_nop 0
	v_mul_lo_u16_sdwa v0, v0, s0 dst_sel:DWORD dst_unused:UNUSED_PAD src0_sel:WORD_1 src1_sel:DWORD
	v_fmac_f64_e32 v[16:17], s[2:3], v[28:29]
	v_fmac_f64_e32 v[8:9], s[2:3], v[28:29]
	v_add_u32_sdwa v28, v0, v60 dst_sel:DWORD dst_unused:UNUSED_PAD src0_sel:DWORD src1_sel:BYTE_0
	v_mad_u64_u32 v[0:1], s[0:1], s4, v28, 0
	v_mov_b32_e32 v25, v26
	v_mov_b32_e32 v26, v1
	v_mad_u64_u32 v[26:27], s[0:1], s5, v28, v[26:27]
	s_lshl_b64 s[0:1], s[16:17], 4
	s_add_u32 s0, s10, s0
	v_add_f64 v[36:37], v[50:51], -v[18:19]
	s_addc_u32 s1, s11, s1
	v_add_f64 v[32:33], v[34:35], v[36:37]
	v_add_f64 v[36:37], v[56:57], v[48:49]
	v_lshl_add_u64 v[22:23], s[0:1], 0, v[22:23]
	v_add_f64 v[36:37], v[36:37], v[50:51]
	v_mov_b32_e32 v1, v26
	v_lshl_add_u64 v[22:23], v[24:25], 4, v[22:23]
	v_add_f64 v[52:53], v[18:19], -v[50:51]
	v_add_f64 v[20:21], v[30:31], v[20:21]
	v_add_f64 v[18:19], v[36:37], v[18:19]
	v_lshl_add_u64 v[0:1], v[0:1], 4, v[22:23]
	global_store_dwordx4 v[0:1], v[18:21], off
	v_add_f64 v[34:35], v[46:47], v[52:53]
	v_fmac_f64_e32 v[6:7], s[2:3], v[34:35]
	v_add_u32_e32 v19, 25, v28
	v_mad_u64_u32 v[0:1], s[0:1], s4, v19, 0
	v_mov_b32_e32 v18, v1
	v_mad_u64_u32 v[18:19], s[0:1], s5, v19, v[18:19]
	v_mov_b32_e32 v1, v18
	v_lshl_add_u64 v[0:1], v[0:1], 4, v[22:23]
	global_store_dwordx4 v[0:1], v[6:9], off
	v_fmac_f64_e32 v[4:5], s[2:3], v[58:59]
	v_fmac_f64_e32 v[2:3], s[2:3], v[32:33]
	v_add_u32_e32 v7, 50, v28
	v_mad_u64_u32 v[0:1], s[0:1], s4, v7, 0
	v_mov_b32_e32 v6, v1
	v_mad_u64_u32 v[6:7], s[0:1], s5, v7, v[6:7]
	v_mov_b32_e32 v1, v6
	v_lshl_add_u64 v[0:1], v[0:1], 4, v[22:23]
	global_store_dwordx4 v[0:1], v[2:5], off
	v_fmac_f64_e32 v[10:11], s[12:13], v[38:39]
	v_fmac_f64_e32 v[12:13], s[2:3], v[58:59]
	v_add_u32_e32 v3, 0x4b, v28
	v_mad_u64_u32 v[0:1], s[0:1], s4, v3, 0
	v_mov_b32_e32 v2, v1
	v_mad_u64_u32 v[2:3], s[0:1], s5, v3, v[2:3]
	v_mov_b32_e32 v1, v2
	v_fmac_f64_e32 v[10:11], s[2:3], v[32:33]
	v_lshl_add_u64 v[0:1], v[0:1], 4, v[22:23]
	v_add_u32_e32 v3, 0x64, v28
	global_store_dwordx4 v[0:1], v[10:13], off
	v_mad_u64_u32 v[0:1], s[0:1], s4, v3, 0
	v_mov_b32_e32 v2, v1
	v_mad_u64_u32 v[2:3], s[0:1], s5, v3, v[2:3]
	v_fmac_f64_e32 v[14:15], s[12:13], v[44:45]
	v_mov_b32_e32 v1, v2
	v_fmac_f64_e32 v[14:15], s[2:3], v[34:35]
	v_lshl_add_u64 v[0:1], v[0:1], 4, v[22:23]
	global_store_dwordx4 v[0:1], v[14:17], off
.LBB0_23:
	s_endpgm
	.section	.rodata,"a",@progbits
	.p2align	6, 0x0
	.amdhsa_kernel fft_rtc_back_len125_factors_5_5_5_wgs_400_tpt_25_dp_op_CI_CI_sbcc_dirReg_intrinsicRead
		.amdhsa_group_segment_fixed_size 0
		.amdhsa_private_segment_fixed_size 0
		.amdhsa_kernarg_size 112
		.amdhsa_user_sgpr_count 2
		.amdhsa_user_sgpr_dispatch_ptr 0
		.amdhsa_user_sgpr_queue_ptr 0
		.amdhsa_user_sgpr_kernarg_segment_ptr 1
		.amdhsa_user_sgpr_dispatch_id 0
		.amdhsa_user_sgpr_kernarg_preload_length 0
		.amdhsa_user_sgpr_kernarg_preload_offset 0
		.amdhsa_user_sgpr_private_segment_size 0
		.amdhsa_uses_dynamic_stack 0
		.amdhsa_enable_private_segment 0
		.amdhsa_system_sgpr_workgroup_id_x 1
		.amdhsa_system_sgpr_workgroup_id_y 0
		.amdhsa_system_sgpr_workgroup_id_z 0
		.amdhsa_system_sgpr_workgroup_info 0
		.amdhsa_system_vgpr_workitem_id 0
		.amdhsa_next_free_vgpr 61
		.amdhsa_next_free_sgpr 49
		.amdhsa_accum_offset 64
		.amdhsa_reserve_vcc 1
		.amdhsa_float_round_mode_32 0
		.amdhsa_float_round_mode_16_64 0
		.amdhsa_float_denorm_mode_32 3
		.amdhsa_float_denorm_mode_16_64 3
		.amdhsa_dx10_clamp 1
		.amdhsa_ieee_mode 1
		.amdhsa_fp16_overflow 0
		.amdhsa_tg_split 0
		.amdhsa_exception_fp_ieee_invalid_op 0
		.amdhsa_exception_fp_denorm_src 0
		.amdhsa_exception_fp_ieee_div_zero 0
		.amdhsa_exception_fp_ieee_overflow 0
		.amdhsa_exception_fp_ieee_underflow 0
		.amdhsa_exception_fp_ieee_inexact 0
		.amdhsa_exception_int_div_zero 0
	.end_amdhsa_kernel
	.text
.Lfunc_end0:
	.size	fft_rtc_back_len125_factors_5_5_5_wgs_400_tpt_25_dp_op_CI_CI_sbcc_dirReg_intrinsicRead, .Lfunc_end0-fft_rtc_back_len125_factors_5_5_5_wgs_400_tpt_25_dp_op_CI_CI_sbcc_dirReg_intrinsicRead
                                        ; -- End function
	.section	.AMDGPU.csdata,"",@progbits
; Kernel info:
; codeLenInByte = 3852
; NumSgprs: 55
; NumVgprs: 61
; NumAgprs: 0
; TotalNumVgprs: 61
; ScratchSize: 0
; MemoryBound: 0
; FloatMode: 240
; IeeeMode: 1
; LDSByteSize: 0 bytes/workgroup (compile time only)
; SGPRBlocks: 6
; VGPRBlocks: 7
; NumSGPRsForWavesPerEU: 55
; NumVGPRsForWavesPerEU: 61
; AccumOffset: 64
; Occupancy: 7
; WaveLimiterHint : 1
; COMPUTE_PGM_RSRC2:SCRATCH_EN: 0
; COMPUTE_PGM_RSRC2:USER_SGPR: 2
; COMPUTE_PGM_RSRC2:TRAP_HANDLER: 0
; COMPUTE_PGM_RSRC2:TGID_X_EN: 1
; COMPUTE_PGM_RSRC2:TGID_Y_EN: 0
; COMPUTE_PGM_RSRC2:TGID_Z_EN: 0
; COMPUTE_PGM_RSRC2:TIDIG_COMP_CNT: 0
; COMPUTE_PGM_RSRC3_GFX90A:ACCUM_OFFSET: 15
; COMPUTE_PGM_RSRC3_GFX90A:TG_SPLIT: 0
	.text
	.p2alignl 6, 3212836864
	.fill 256, 4, 3212836864
	.type	__hip_cuid_c317e1913b9a038c,@object ; @__hip_cuid_c317e1913b9a038c
	.section	.bss,"aw",@nobits
	.globl	__hip_cuid_c317e1913b9a038c
__hip_cuid_c317e1913b9a038c:
	.byte	0                               ; 0x0
	.size	__hip_cuid_c317e1913b9a038c, 1

	.ident	"AMD clang version 19.0.0git (https://github.com/RadeonOpenCompute/llvm-project roc-6.4.0 25133 c7fe45cf4b819c5991fe208aaa96edf142730f1d)"
	.section	".note.GNU-stack","",@progbits
	.addrsig
	.addrsig_sym __hip_cuid_c317e1913b9a038c
	.amdgpu_metadata
---
amdhsa.kernels:
  - .agpr_count:     0
    .args:
      - .actual_access:  read_only
        .address_space:  global
        .offset:         0
        .size:           8
        .value_kind:     global_buffer
      - .address_space:  global
        .offset:         8
        .size:           8
        .value_kind:     global_buffer
      - .offset:         16
        .size:           8
        .value_kind:     by_value
      - .actual_access:  read_only
        .address_space:  global
        .offset:         24
        .size:           8
        .value_kind:     global_buffer
      - .actual_access:  read_only
        .address_space:  global
        .offset:         32
        .size:           8
        .value_kind:     global_buffer
      - .actual_access:  read_only
        .address_space:  global
        .offset:         40
        .size:           8
        .value_kind:     global_buffer
      - .offset:         48
        .size:           8
        .value_kind:     by_value
      - .actual_access:  read_only
        .address_space:  global
        .offset:         56
        .size:           8
        .value_kind:     global_buffer
      - .actual_access:  read_only
        .address_space:  global
        .offset:         64
        .size:           8
        .value_kind:     global_buffer
      - .offset:         72
        .size:           4
        .value_kind:     by_value
      - .actual_access:  read_only
        .address_space:  global
        .offset:         80
        .size:           8
        .value_kind:     global_buffer
      - .actual_access:  read_only
        .address_space:  global
        .offset:         88
        .size:           8
        .value_kind:     global_buffer
      - .actual_access:  read_only
        .address_space:  global
        .offset:         96
        .size:           8
        .value_kind:     global_buffer
      - .actual_access:  write_only
        .address_space:  global
        .offset:         104
        .size:           8
        .value_kind:     global_buffer
    .group_segment_fixed_size: 0
    .kernarg_segment_align: 8
    .kernarg_segment_size: 112
    .language:       OpenCL C
    .language_version:
      - 2
      - 0
    .max_flat_workgroup_size: 400
    .name:           fft_rtc_back_len125_factors_5_5_5_wgs_400_tpt_25_dp_op_CI_CI_sbcc_dirReg_intrinsicRead
    .private_segment_fixed_size: 0
    .sgpr_count:     55
    .sgpr_spill_count: 0
    .symbol:         fft_rtc_back_len125_factors_5_5_5_wgs_400_tpt_25_dp_op_CI_CI_sbcc_dirReg_intrinsicRead.kd
    .uniform_work_group_size: 1
    .uses_dynamic_stack: false
    .vgpr_count:     61
    .vgpr_spill_count: 0
    .wavefront_size: 64
amdhsa.target:   amdgcn-amd-amdhsa--gfx950
amdhsa.version:
  - 1
  - 2
...

	.end_amdgpu_metadata
